;; amdgpu-corpus repo=ROCm/rocFFT kind=compiled arch=gfx1030 opt=O3
	.text
	.amdgcn_target "amdgcn-amd-amdhsa--gfx1030"
	.amdhsa_code_object_version 6
	.protected	fft_rtc_fwd_len660_factors_11_6_10_wgs_110_tpt_110_halfLds_dp_op_CI_CI_sbrr_dirReg ; -- Begin function fft_rtc_fwd_len660_factors_11_6_10_wgs_110_tpt_110_halfLds_dp_op_CI_CI_sbrr_dirReg
	.globl	fft_rtc_fwd_len660_factors_11_6_10_wgs_110_tpt_110_halfLds_dp_op_CI_CI_sbrr_dirReg
	.p2align	8
	.type	fft_rtc_fwd_len660_factors_11_6_10_wgs_110_tpt_110_halfLds_dp_op_CI_CI_sbrr_dirReg,@function
fft_rtc_fwd_len660_factors_11_6_10_wgs_110_tpt_110_halfLds_dp_op_CI_CI_sbrr_dirReg: ; @fft_rtc_fwd_len660_factors_11_6_10_wgs_110_tpt_110_halfLds_dp_op_CI_CI_sbrr_dirReg
; %bb.0:
	s_clause 0x2
	s_load_dwordx4 s[16:19], s[4:5], 0x18
	s_load_dwordx4 s[12:15], s[4:5], 0x0
	;; [unrolled: 1-line block ×3, first 2 shown]
	v_mul_u32_u24_e32 v1, 0x254, v0
	v_mov_b32_e32 v3, 0
	s_waitcnt lgkmcnt(0)
	s_load_dwordx2 s[20:21], s[16:17], 0x0
	s_load_dwordx2 s[2:3], s[18:19], 0x0
	v_cmp_lt_u64_e64 s0, s[14:15], 2
	v_add_nc_u32_sdwa v5, s6, v1 dst_sel:DWORD dst_unused:UNUSED_PAD src0_sel:DWORD src1_sel:WORD_1
	v_mov_b32_e32 v1, 0
	v_mov_b32_e32 v6, v3
	;; [unrolled: 1-line block ×3, first 2 shown]
	s_and_b32 vcc_lo, exec_lo, s0
	s_cbranch_vccnz .LBB0_8
; %bb.1:
	s_load_dwordx2 s[0:1], s[4:5], 0x10
	v_mov_b32_e32 v1, 0
	v_mov_b32_e32 v2, 0
	s_add_u32 s6, s18, 8
	s_addc_u32 s7, s19, 0
	s_add_u32 s22, s16, 8
	s_addc_u32 s23, s17, 0
	v_mov_b32_e32 v71, v2
	v_mov_b32_e32 v70, v1
	s_mov_b64 s[26:27], 1
	s_waitcnt lgkmcnt(0)
	s_add_u32 s24, s0, 8
	s_addc_u32 s25, s1, 0
.LBB0_2:                                ; =>This Inner Loop Header: Depth=1
	s_load_dwordx2 s[28:29], s[24:25], 0x0
                                        ; implicit-def: $vgpr72_vgpr73
	s_mov_b32 s0, exec_lo
	s_waitcnt lgkmcnt(0)
	v_or_b32_e32 v4, s29, v6
	v_cmpx_ne_u64_e32 0, v[3:4]
	s_xor_b32 s1, exec_lo, s0
	s_cbranch_execz .LBB0_4
; %bb.3:                                ;   in Loop: Header=BB0_2 Depth=1
	v_cvt_f32_u32_e32 v4, s28
	v_cvt_f32_u32_e32 v7, s29
	s_sub_u32 s0, 0, s28
	s_subb_u32 s30, 0, s29
	v_fmac_f32_e32 v4, 0x4f800000, v7
	v_rcp_f32_e32 v4, v4
	v_mul_f32_e32 v4, 0x5f7ffffc, v4
	v_mul_f32_e32 v7, 0x2f800000, v4
	v_trunc_f32_e32 v7, v7
	v_fmac_f32_e32 v4, 0xcf800000, v7
	v_cvt_u32_f32_e32 v7, v7
	v_cvt_u32_f32_e32 v4, v4
	v_mul_lo_u32 v8, s0, v7
	v_mul_hi_u32 v9, s0, v4
	v_mul_lo_u32 v10, s30, v4
	v_add_nc_u32_e32 v8, v9, v8
	v_mul_lo_u32 v9, s0, v4
	v_add_nc_u32_e32 v8, v8, v10
	v_mul_hi_u32 v10, v4, v9
	v_mul_lo_u32 v11, v4, v8
	v_mul_hi_u32 v12, v4, v8
	v_mul_hi_u32 v13, v7, v9
	v_mul_lo_u32 v9, v7, v9
	v_mul_hi_u32 v14, v7, v8
	v_mul_lo_u32 v8, v7, v8
	v_add_co_u32 v10, vcc_lo, v10, v11
	v_add_co_ci_u32_e32 v11, vcc_lo, 0, v12, vcc_lo
	v_add_co_u32 v9, vcc_lo, v10, v9
	v_add_co_ci_u32_e32 v9, vcc_lo, v11, v13, vcc_lo
	v_add_co_ci_u32_e32 v10, vcc_lo, 0, v14, vcc_lo
	v_add_co_u32 v8, vcc_lo, v9, v8
	v_add_co_ci_u32_e32 v9, vcc_lo, 0, v10, vcc_lo
	v_add_co_u32 v4, vcc_lo, v4, v8
	v_add_co_ci_u32_e32 v7, vcc_lo, v7, v9, vcc_lo
	v_mul_hi_u32 v8, s0, v4
	v_mul_lo_u32 v10, s30, v4
	v_mul_lo_u32 v9, s0, v7
	v_add_nc_u32_e32 v8, v8, v9
	v_mul_lo_u32 v9, s0, v4
	v_add_nc_u32_e32 v8, v8, v10
	v_mul_hi_u32 v10, v4, v9
	v_mul_lo_u32 v11, v4, v8
	v_mul_hi_u32 v12, v4, v8
	v_mul_hi_u32 v13, v7, v9
	v_mul_lo_u32 v9, v7, v9
	v_mul_hi_u32 v14, v7, v8
	v_mul_lo_u32 v8, v7, v8
	v_add_co_u32 v10, vcc_lo, v10, v11
	v_add_co_ci_u32_e32 v11, vcc_lo, 0, v12, vcc_lo
	v_add_co_u32 v9, vcc_lo, v10, v9
	v_add_co_ci_u32_e32 v9, vcc_lo, v11, v13, vcc_lo
	v_add_co_ci_u32_e32 v10, vcc_lo, 0, v14, vcc_lo
	v_add_co_u32 v8, vcc_lo, v9, v8
	v_add_co_ci_u32_e32 v9, vcc_lo, 0, v10, vcc_lo
	v_add_co_u32 v4, vcc_lo, v4, v8
	v_add_co_ci_u32_e32 v11, vcc_lo, v7, v9, vcc_lo
	v_mul_hi_u32 v13, v5, v4
	v_mad_u64_u32 v[9:10], null, v6, v4, 0
	v_mad_u64_u32 v[7:8], null, v5, v11, 0
	v_mad_u64_u32 v[11:12], null, v6, v11, 0
	v_add_co_u32 v4, vcc_lo, v13, v7
	v_add_co_ci_u32_e32 v7, vcc_lo, 0, v8, vcc_lo
	v_add_co_u32 v4, vcc_lo, v4, v9
	v_add_co_ci_u32_e32 v4, vcc_lo, v7, v10, vcc_lo
	v_add_co_ci_u32_e32 v7, vcc_lo, 0, v12, vcc_lo
	v_add_co_u32 v4, vcc_lo, v4, v11
	v_add_co_ci_u32_e32 v9, vcc_lo, 0, v7, vcc_lo
	v_mul_lo_u32 v10, s29, v4
	v_mad_u64_u32 v[7:8], null, s28, v4, 0
	v_mul_lo_u32 v11, s28, v9
	v_sub_co_u32 v7, vcc_lo, v5, v7
	v_add3_u32 v8, v8, v11, v10
	v_sub_nc_u32_e32 v10, v6, v8
	v_subrev_co_ci_u32_e64 v10, s0, s29, v10, vcc_lo
	v_add_co_u32 v11, s0, v4, 2
	v_add_co_ci_u32_e64 v12, s0, 0, v9, s0
	v_sub_co_u32 v13, s0, v7, s28
	v_sub_co_ci_u32_e32 v8, vcc_lo, v6, v8, vcc_lo
	v_subrev_co_ci_u32_e64 v10, s0, 0, v10, s0
	v_cmp_le_u32_e32 vcc_lo, s28, v13
	v_cmp_eq_u32_e64 s0, s29, v8
	v_cndmask_b32_e64 v13, 0, -1, vcc_lo
	v_cmp_le_u32_e32 vcc_lo, s29, v10
	v_cndmask_b32_e64 v14, 0, -1, vcc_lo
	v_cmp_le_u32_e32 vcc_lo, s28, v7
	;; [unrolled: 2-line block ×3, first 2 shown]
	v_cndmask_b32_e64 v15, 0, -1, vcc_lo
	v_cmp_eq_u32_e32 vcc_lo, s29, v10
	v_cndmask_b32_e64 v7, v15, v7, s0
	v_cndmask_b32_e32 v10, v14, v13, vcc_lo
	v_add_co_u32 v13, vcc_lo, v4, 1
	v_add_co_ci_u32_e32 v14, vcc_lo, 0, v9, vcc_lo
	v_cmp_ne_u32_e32 vcc_lo, 0, v10
	v_cndmask_b32_e32 v8, v14, v12, vcc_lo
	v_cndmask_b32_e32 v10, v13, v11, vcc_lo
	v_cmp_ne_u32_e32 vcc_lo, 0, v7
	v_cndmask_b32_e32 v73, v9, v8, vcc_lo
	v_cndmask_b32_e32 v72, v4, v10, vcc_lo
.LBB0_4:                                ;   in Loop: Header=BB0_2 Depth=1
	s_andn2_saveexec_b32 s0, s1
	s_cbranch_execz .LBB0_6
; %bb.5:                                ;   in Loop: Header=BB0_2 Depth=1
	v_cvt_f32_u32_e32 v4, s28
	s_sub_i32 s1, 0, s28
	v_mov_b32_e32 v73, v3
	v_rcp_iflag_f32_e32 v4, v4
	v_mul_f32_e32 v4, 0x4f7ffffe, v4
	v_cvt_u32_f32_e32 v4, v4
	v_mul_lo_u32 v7, s1, v4
	v_mul_hi_u32 v7, v4, v7
	v_add_nc_u32_e32 v4, v4, v7
	v_mul_hi_u32 v4, v5, v4
	v_mul_lo_u32 v7, v4, s28
	v_add_nc_u32_e32 v8, 1, v4
	v_sub_nc_u32_e32 v7, v5, v7
	v_subrev_nc_u32_e32 v9, s28, v7
	v_cmp_le_u32_e32 vcc_lo, s28, v7
	v_cndmask_b32_e32 v7, v7, v9, vcc_lo
	v_cndmask_b32_e32 v4, v4, v8, vcc_lo
	v_cmp_le_u32_e32 vcc_lo, s28, v7
	v_add_nc_u32_e32 v8, 1, v4
	v_cndmask_b32_e32 v72, v4, v8, vcc_lo
.LBB0_6:                                ;   in Loop: Header=BB0_2 Depth=1
	s_or_b32 exec_lo, exec_lo, s0
	v_mul_lo_u32 v4, v73, s28
	v_mul_lo_u32 v9, v72, s29
	s_load_dwordx2 s[0:1], s[22:23], 0x0
	v_mad_u64_u32 v[7:8], null, v72, s28, 0
	s_load_dwordx2 s[28:29], s[6:7], 0x0
	s_add_u32 s26, s26, 1
	s_addc_u32 s27, s27, 0
	s_add_u32 s6, s6, 8
	s_addc_u32 s7, s7, 0
	s_add_u32 s22, s22, 8
	v_add3_u32 v4, v8, v9, v4
	v_sub_co_u32 v5, vcc_lo, v5, v7
	s_addc_u32 s23, s23, 0
	s_add_u32 s24, s24, 8
	v_sub_co_ci_u32_e32 v4, vcc_lo, v6, v4, vcc_lo
	s_addc_u32 s25, s25, 0
	s_waitcnt lgkmcnt(0)
	v_mul_lo_u32 v6, s0, v4
	v_mul_lo_u32 v7, s1, v5
	v_mad_u64_u32 v[1:2], null, s0, v5, v[1:2]
	v_mul_lo_u32 v4, s28, v4
	v_mul_lo_u32 v8, s29, v5
	v_mad_u64_u32 v[70:71], null, s28, v5, v[70:71]
	v_cmp_ge_u64_e64 s0, s[26:27], s[14:15]
	v_add3_u32 v2, v7, v2, v6
	v_add3_u32 v71, v8, v71, v4
	s_and_b32 vcc_lo, exec_lo, s0
	s_cbranch_vccnz .LBB0_9
; %bb.7:                                ;   in Loop: Header=BB0_2 Depth=1
	v_mov_b32_e32 v5, v72
	v_mov_b32_e32 v6, v73
	s_branch .LBB0_2
.LBB0_8:
	v_mov_b32_e32 v71, v2
	v_mov_b32_e32 v73, v6
	;; [unrolled: 1-line block ×4, first 2 shown]
.LBB0_9:
	s_load_dwordx2 s[0:1], s[4:5], 0x28
	v_mul_hi_u32 v3, 0x253c826, v0
	s_lshl_b64 s[6:7], s[14:15], 3
                                        ; implicit-def: $vgpr20_vgpr21
                                        ; implicit-def: $vgpr24_vgpr25
                                        ; implicit-def: $vgpr28_vgpr29
                                        ; implicit-def: $vgpr36_vgpr37
                                        ; implicit-def: $vgpr48_vgpr49
                                        ; implicit-def: $vgpr52_vgpr53
                                        ; implicit-def: $vgpr56_vgpr57
                                        ; implicit-def: $vgpr40_vgpr41
                                        ; implicit-def: $vgpr44_vgpr45
                                        ; implicit-def: $vgpr32_vgpr33
                                        ; implicit-def: $vgpr16_vgpr17
	s_add_u32 s4, s18, s6
	s_addc_u32 s5, s19, s7
	v_mul_u32_u24_e32 v3, 0x6e, v3
	v_sub_nc_u32_e32 v116, v0, v3
	s_waitcnt lgkmcnt(0)
	v_cmp_gt_u64_e32 vcc_lo, s[0:1], v[72:73]
	v_cmp_gt_u32_e64 s0, 60, v116
	s_and_b32 s1, vcc_lo, s0
	s_and_saveexec_b32 s14, s1
	s_cbranch_execz .LBB0_11
; %bb.10:
	s_add_u32 s6, s16, s6
	s_addc_u32 s7, s17, s7
	v_mad_u64_u32 v[3:4], null, s20, v116, 0
	s_load_dwordx2 s[6:7], s[6:7], 0x0
	v_add_nc_u32_e32 v15, 60, v116
	v_add_nc_u32_e32 v16, 0x78, v116
	;; [unrolled: 1-line block ×5, first 2 shown]
	v_mad_u64_u32 v[5:6], null, s20, v15, 0
	v_mov_b32_e32 v0, v4
	v_mad_u64_u32 v[7:8], null, s20, v16, 0
	v_mad_u64_u32 v[11:12], null, s20, v17, 0
	;; [unrolled: 1-line block ×3, first 2 shown]
	v_lshlrev_b64 v[0:1], 4, v[1:2]
	v_mov_b32_e32 v2, v6
	v_mov_b32_e32 v6, v8
	v_mad_u64_u32 v[18:19], null, s20, v20, 0
	s_waitcnt lgkmcnt(0)
	v_mul_lo_u32 v4, s7, v72
	v_mul_lo_u32 v21, s6, v73
	v_mad_u64_u32 v[9:10], null, s6, v72, 0
	v_add_nc_u32_e32 v24, 0x258, v116
	v_add3_u32 v10, v10, v21, v4
	v_mov_b32_e32 v4, v13
	v_mad_u64_u32 v[13:14], null, s21, v15, v[2:3]
	v_mad_u64_u32 v[14:15], null, s21, v16, v[6:7]
	v_lshlrev_b64 v[8:9], 4, v[9:10]
	v_lshlrev_b64 v[2:3], 4, v[3:4]
	v_add_nc_u32_e32 v10, 0x12c, v116
	v_mov_b32_e32 v6, v13
	v_add_co_u32 v4, s1, s8, v8
	v_add_co_ci_u32_e64 v8, s1, s9, v9, s1
	v_mov_b32_e32 v9, v19
	v_add_co_u32 v13, s1, v4, v0
	v_add_co_ci_u32_e64 v22, s1, v8, v1, s1
	v_lshlrev_b64 v[0:1], 4, v[5:6]
	v_add_co_u32 v2, s1, v13, v2
	v_add_co_ci_u32_e64 v3, s1, v22, v3, s1
	v_mad_u64_u32 v[4:5], null, s21, v17, v[12:13]
	v_add_co_u32 v0, s1, v13, v0
	v_mad_u64_u32 v[5:6], null, s20, v10, 0
	v_add_co_ci_u32_e64 v1, s1, v22, v1, s1
	v_mov_b32_e32 v8, v14
	s_clause 0x1
	global_load_dwordx4 v[14:17], v[2:3], off
	global_load_dwordx4 v[30:33], v[0:1], off
	v_mad_u64_u32 v[2:3], null, s21, v20, v[9:10]
	v_mov_b32_e32 v12, v4
	v_mov_b32_e32 v3, v6
	v_lshlrev_b64 v[0:1], 4, v[7:8]
	v_add_nc_u32_e32 v20, 0x1e0, v116
	v_lshlrev_b64 v[6:7], 4, v[11:12]
	v_mov_b32_e32 v19, v2
	v_mad_u64_u32 v[2:3], null, s21, v10, v[3:4]
	v_add_nc_u32_e32 v11, 0x168, v116
	v_add_co_u32 v0, s1, v13, v0
	v_add_co_ci_u32_e64 v1, s1, v22, v1, s1
	v_add_co_u32 v3, s1, v13, v6
	v_mad_u64_u32 v[9:10], null, s20, v11, 0
	v_add_co_ci_u32_e64 v4, s1, v22, v7, s1
	v_lshlrev_b64 v[7:8], 4, v[18:19]
	v_mov_b32_e32 v6, v2
	s_clause 0x1
	global_load_dwordx4 v[42:45], v[0:1], off
	global_load_dwordx4 v[38:41], v[3:4], off
	v_mad_u64_u32 v[18:19], null, s20, v23, 0
	v_mov_b32_e32 v2, v10
	v_add_co_u32 v0, s1, v13, v7
	v_lshlrev_b64 v[3:4], 4, v[5:6]
	v_add_co_ci_u32_e64 v1, s1, v22, v8, s1
	v_add_nc_u32_e32 v8, 0x1a4, v116
	v_mad_u64_u32 v[5:6], null, s21, v11, v[2:3]
	v_mad_u64_u32 v[6:7], null, s20, v8, 0
	;; [unrolled: 1-line block ×3, first 2 shown]
	v_add_co_u32 v2, s1, v13, v3
	v_add_co_ci_u32_e64 v3, s1, v22, v4, s1
	v_mov_b32_e32 v10, v5
	v_mov_b32_e32 v4, v7
	;; [unrolled: 1-line block ×3, first 2 shown]
	s_clause 0x1
	global_load_dwordx4 v[54:57], v[0:1], off
	global_load_dwordx4 v[50:53], v[2:3], off
	v_mov_b32_e32 v0, v19
	v_lshlrev_b64 v[1:2], 4, v[9:10]
	v_mad_u64_u32 v[7:8], null, s21, v8, v[4:5]
	v_mad_u64_u32 v[4:5], null, s21, v20, v[5:6]
	;; [unrolled: 1-line block ×3, first 2 shown]
	v_mov_b32_e32 v12, v4
	v_mad_u64_u32 v[3:4], null, s21, v23, v[0:1]
	v_mov_b32_e32 v0, v21
	v_add_co_u32 v1, s1, v13, v1
	v_lshlrev_b64 v[4:5], 4, v[6:7]
	v_add_co_ci_u32_e64 v2, s1, v22, v2, s1
	v_mad_u64_u32 v[6:7], null, s21, v24, v[0:1]
	v_lshlrev_b64 v[7:8], 4, v[11:12]
	v_mov_b32_e32 v19, v3
	v_add_co_u32 v3, s1, v13, v4
	v_add_co_ci_u32_e64 v4, s1, v22, v5, s1
	v_mov_b32_e32 v21, v6
	v_lshlrev_b64 v[9:10], 4, v[18:19]
	v_add_co_u32 v5, s1, v13, v7
	v_add_co_ci_u32_e64 v6, s1, v22, v8, s1
	v_lshlrev_b64 v[7:8], 4, v[20:21]
	v_add_co_u32 v9, s1, v13, v9
	v_add_co_ci_u32_e64 v10, s1, v22, v10, s1
	v_add_co_u32 v7, s1, v13, v7
	v_add_co_ci_u32_e64 v8, s1, v22, v8, s1
	s_clause 0x4
	global_load_dwordx4 v[46:49], v[1:2], off
	global_load_dwordx4 v[34:37], v[3:4], off
	global_load_dwordx4 v[26:29], v[5:6], off
	global_load_dwordx4 v[22:25], v[9:10], off
	global_load_dwordx4 v[18:21], v[7:8], off
.LBB0_11:
	s_or_b32 exec_lo, exec_lo, s14
	s_waitcnt vmcnt(0)
	v_add_f64 v[8:9], v[18:19], v[30:31]
	s_mov_b32 s6, 0xd9c712b6
	s_mov_b32 s8, 0x7f775887
	;; [unrolled: 1-line block ×8, first 2 shown]
	v_add_f64 v[10:11], v[32:33], -v[20:21]
	v_add_f64 v[12:13], v[22:23], v[42:43]
	s_mov_b32 s38, 0x8eee2c13
	s_mov_b32 s22, 0xbb3a28a1
	;; [unrolled: 1-line block ×10, first 2 shown]
	v_add_f64 v[112:113], v[44:45], -v[24:25]
	v_mul_f64 v[58:59], v[8:9], s[6:7]
	v_mul_f64 v[60:61], v[8:9], s[14:15]
	;; [unrolled: 1-line block ×4, first 2 shown]
	v_add_f64 v[64:65], v[26:27], v[38:39]
	s_mov_b32 s26, 0xf8bb580b
	s_mov_b32 s37, 0x3fd207e7
	s_mov_b32 s29, 0x3fefac9e
	s_mov_b32 s27, 0x3fe14ced
	s_mov_b32 s36, s24
	v_mul_f64 v[88:89], v[12:13], s[8:9]
	v_mul_f64 v[96:97], v[12:13], s[16:17]
	;; [unrolled: 1-line block ×4, first 2 shown]
	s_mov_b32 s28, s20
	v_add_f64 v[114:115], v[40:41], -v[28:29]
	v_add_f64 v[62:63], v[34:35], v[54:55]
	s_mov_b32 s31, 0x3fed1bb4
	s_mov_b32 s35, 0xbfe14ced
	;; [unrolled: 1-line block ×4, first 2 shown]
	v_add_f64 v[106:107], v[56:57], -v[36:37]
	v_fma_f64 v[0:1], v[10:11], s[38:39], v[58:59]
	v_fma_f64 v[2:3], v[10:11], s[20:21], v[60:61]
	;; [unrolled: 1-line block ×4, first 2 shown]
	v_mul_f64 v[68:69], v[64:65], s[16:17]
	v_mul_f64 v[76:77], v[64:65], s[6:7]
	;; [unrolled: 1-line block ×4, first 2 shown]
	v_add_f64 v[66:67], v[46:47], v[50:51]
	v_add_f64 v[108:109], v[52:53], -v[48:49]
	v_fma_f64 v[80:81], v[112:113], s[22:23], v[88:89]
	v_fma_f64 v[86:87], v[112:113], s[36:37], v[96:97]
	;; [unrolled: 1-line block ×4, first 2 shown]
	v_mul_f64 v[74:75], v[62:63], s[14:15]
	v_mul_f64 v[78:79], v[62:63], s[18:19]
	;; [unrolled: 1-line block ×4, first 2 shown]
	v_add_f64 v[0:1], v[14:15], v[0:1]
	v_add_f64 v[2:3], v[14:15], v[2:3]
	;; [unrolled: 1-line block ×4, first 2 shown]
	v_fma_f64 v[117:118], v[114:115], s[36:37], v[68:69]
	v_fma_f64 v[119:120], v[114:115], s[30:31], v[76:77]
	;; [unrolled: 1-line block ×8, first 2 shown]
	v_add_f64 v[0:1], v[80:81], v[0:1]
	v_add_f64 v[2:3], v[86:87], v[2:3]
	;; [unrolled: 1-line block ×4, first 2 shown]
	v_mul_f64 v[80:81], v[66:67], s[18:19]
	v_mul_f64 v[86:87], v[66:67], s[8:9]
	;; [unrolled: 1-line block ×4, first 2 shown]
	v_add_f64 v[0:1], v[117:118], v[0:1]
	v_add_f64 v[2:3], v[119:120], v[2:3]
	;; [unrolled: 1-line block ×4, first 2 shown]
	v_fma_f64 v[117:118], v[108:109], s[26:27], v[80:81]
	v_fma_f64 v[119:120], v[108:109], s[22:23], v[86:87]
	;; [unrolled: 1-line block ×4, first 2 shown]
	v_add_f64 v[0:1], v[125:126], v[0:1]
	v_add_f64 v[125:126], v[127:128], v[2:3]
	v_add_f64 v[4:5], v[129:130], v[4:5]
	v_add_f64 v[127:128], v[131:132], v[6:7]
	v_add_f64 v[2:3], v[117:118], v[0:1]
	v_add_f64 v[0:1], v[119:120], v[125:126]
	v_add_f64 v[6:7], v[121:122], v[4:5]
	v_add_f64 v[4:5], v[123:124], v[127:128]
	s_and_saveexec_b32 s1, s0
	s_cbranch_execz .LBB0_13
; %bb.12:
	v_add_f64 v[117:118], v[30:31], v[14:15]
	v_mul_f64 v[123:124], v[10:11], s[20:21]
	v_mul_f64 v[125:126], v[10:11], s[38:39]
	;; [unrolled: 1-line block ×10, first 2 shown]
	v_add_f64 v[117:118], v[42:43], v[117:118]
	v_add_f64 v[60:61], v[60:61], -v[123:124]
	v_add_f64 v[58:59], v[58:59], -v[125:126]
	;; [unrolled: 1-line block ×4, first 2 shown]
	v_fma_f64 v[119:120], v[8:9], s[18:19], -v[10:11]
	v_fma_f64 v[8:9], v[8:9], s[18:19], v[10:11]
	v_mul_f64 v[123:124], v[114:115], s[30:31]
	v_mul_f64 v[125:126], v[114:115], s[36:37]
	v_add_f64 v[96:97], v[96:97], -v[131:132]
	v_add_f64 v[88:89], v[88:89], -v[133:134]
	v_mul_f64 v[10:11], v[114:115], s[22:23]
	v_mul_f64 v[121:122], v[114:115], s[34:35]
	v_add_f64 v[104:105], v[104:105], -v[127:128]
	v_add_f64 v[98:99], v[98:99], -v[129:130]
	v_mul_f64 v[114:115], v[114:115], s[20:21]
	v_fma_f64 v[127:128], v[12:13], s[6:7], v[112:113]
	v_fma_f64 v[12:13], v[12:13], s[6:7], -v[112:113]
	v_mul_f64 v[131:132], v[106:107], s[28:29]
	v_mul_f64 v[129:130], v[106:107], s[24:25]
	v_add_f64 v[117:118], v[38:39], v[117:118]
	v_add_f64 v[60:61], v[14:15], v[60:61]
	;; [unrolled: 1-line block ×7, first 2 shown]
	v_mul_f64 v[119:120], v[106:107], s[34:35]
	v_add_f64 v[76:77], v[76:77], -v[123:124]
	v_add_f64 v[68:69], v[68:69], -v[125:126]
	v_mul_f64 v[14:15], v[106:107], s[30:31]
	v_add_f64 v[10:11], v[90:91], -v[10:11]
	v_add_f64 v[82:83], v[82:83], -v[121:122]
	v_mul_f64 v[106:107], v[106:107], s[22:23]
	v_fma_f64 v[90:91], v[64:65], s[14:15], v[114:115]
	v_fma_f64 v[64:65], v[64:65], s[14:15], -v[114:115]
	v_add_f64 v[74:75], v[74:75], -v[131:132]
	v_add_f64 v[84:85], v[84:85], -v[129:130]
	v_add_f64 v[117:118], v[54:55], v[117:118]
	v_add_f64 v[60:61], v[96:97], v[60:61]
	;; [unrolled: 1-line block ×7, first 2 shown]
	v_mul_f64 v[96:97], v[108:109], s[26:27]
	v_mul_f64 v[100:101], v[108:109], s[22:23]
	v_add_f64 v[78:79], v[78:79], -v[119:120]
	v_mul_f64 v[110:111], v[108:109], s[30:31]
	v_mul_f64 v[112:113], v[108:109], s[20:21]
	v_add_f64 v[14:15], v[92:93], -v[14:15]
	v_mul_f64 v[108:109], v[108:109], s[24:25]
	v_fma_f64 v[92:93], v[62:63], s[8:9], v[106:107]
	v_fma_f64 v[62:63], v[62:63], s[8:9], -v[106:107]
	v_add_f64 v[117:118], v[50:51], v[117:118]
	v_add_f64 v[60:61], v[76:77], v[60:61]
	;; [unrolled: 1-line block ×7, first 2 shown]
	v_add_f64 v[80:81], v[80:81], -v[96:97]
	v_add_f64 v[86:87], v[86:87], -v[100:101]
	;; [unrolled: 1-line block ×4, first 2 shown]
	v_add_f64 v[117:118], v[46:47], v[117:118]
	v_add_f64 v[60:61], v[78:79], v[60:61]
	;; [unrolled: 1-line block ×13, first 2 shown]
	v_fma_f64 v[88:89], v[66:67], s[16:17], v[108:109]
	v_fma_f64 v[66:67], v[66:67], s[16:17], -v[108:109]
	v_add_f64 v[62:63], v[22:23], v[64:65]
	v_add_f64 v[8:9], v[88:89], v[8:9]
	;; [unrolled: 1-line block ×3, first 2 shown]
	v_mad_u32_u24 v64, 0x58, v116, 0
	v_add_f64 v[62:63], v[18:19], v[62:63]
	ds_write2_b64 v64, v[4:5], v[6:7] offset0:6 offset1:7
	ds_write2_b64 v64, v[0:1], v[2:3] offset0:8 offset1:9
	;; [unrolled: 1-line block ×4, first 2 shown]
	ds_write2_b64 v64, v[62:63], v[12:13] offset1:1
	ds_write_b64 v64, v[8:9] offset:80
.LBB0_13:
	s_or_b32 exec_lo, exec_lo, s1
	v_add_f64 v[112:113], v[30:31], -v[18:19]
	v_add_f64 v[110:111], v[42:43], -v[22:23]
	v_add_f64 v[100:101], v[20:21], v[32:33]
	v_add_f64 v[90:91], v[38:39], -v[26:27]
	v_add_f64 v[88:89], v[24:25], v[44:45]
	v_add_f64 v[42:43], v[28:29], v[40:41]
	v_add_f64 v[86:87], v[54:55], -v[34:35]
	v_add_f64 v[22:23], v[36:37], v[56:57]
	v_add_f64 v[76:77], v[50:51], -v[46:47]
	s_waitcnt lgkmcnt(0)
	s_barrier
	buffer_gl0_inv
	v_mul_f64 v[102:103], v[112:113], s[38:39]
	v_mul_f64 v[104:105], v[112:113], s[20:21]
	;; [unrolled: 1-line block ×17, first 2 shown]
	v_fma_f64 v[8:9], v[100:101], s[6:7], -v[102:103]
	v_fma_f64 v[10:11], v[100:101], s[14:15], -v[104:105]
	;; [unrolled: 1-line block ×16, first 2 shown]
	v_add_f64 v[8:9], v[16:17], v[8:9]
	v_add_f64 v[10:11], v[16:17], v[10:11]
	;; [unrolled: 1-line block ×9, first 2 shown]
	v_mul_f64 v[34:35], v[76:77], s[22:23]
	v_mul_f64 v[30:31], v[76:77], s[30:31]
	;; [unrolled: 1-line block ×3, first 2 shown]
	v_add_f64 v[8:9], v[58:59], v[8:9]
	v_add_f64 v[10:11], v[60:61], v[10:11]
	;; [unrolled: 1-line block ×4, first 2 shown]
	v_fma_f64 v[58:59], v[18:19], s[18:19], -v[38:39]
	v_fma_f64 v[60:61], v[18:19], s[8:9], -v[34:35]
	;; [unrolled: 1-line block ×4, first 2 shown]
	v_add_f64 v[8:9], v[66:67], v[8:9]
	v_add_f64 v[66:67], v[68:69], v[10:11]
	;; [unrolled: 1-line block ×4, first 2 shown]
	v_lshl_add_u32 v114, v116, 3, 0
	v_add_nc_u32_e32 v115, 0x400, v114
	v_add_nc_u32_e32 v117, 0xc00, v114
	v_add_f64 v[10:11], v[58:59], v[8:9]
	v_add_f64 v[8:9], v[60:61], v[66:67]
	;; [unrolled: 1-line block ×4, first 2 shown]
	ds_read2_b64 v[58:61], v114 offset1:110
	ds_read2_b64 v[62:65], v115 offset0:92 offset1:202
	ds_read2_b64 v[66:69], v117 offset0:56 offset1:166
	s_waitcnt lgkmcnt(0)
	s_barrier
	buffer_gl0_inv
	s_and_saveexec_b32 s1, s0
	s_cbranch_execz .LBB0_15
; %bb.14:
	v_add_f64 v[32:33], v[32:33], v[16:17]
	s_mov_b32 s20, 0xf8bb580b
	s_mov_b32 s21, 0xbfe14ced
	v_mul_f64 v[118:119], v[100:101], s[8:9]
	v_mul_f64 v[120:121], v[100:101], s[16:17]
	;; [unrolled: 1-line block ×3, first 2 shown]
	s_mov_b32 s20, 0x8eee2c13
	s_mov_b32 s21, 0xbfed1bb4
	v_mul_f64 v[122:123], v[88:89], s[16:17]
	v_mul_f64 v[110:111], v[110:111], s[20:21]
	s_mov_b32 s20, 0x8764f0ba
	s_mov_b32 s21, 0x3feaeb8c
	v_mul_f64 v[124:125], v[88:89], s[14:15]
	v_mul_f64 v[126:127], v[88:89], s[18:19]
	s_mov_b32 s22, 0xd9c712b6
	s_mov_b32 s23, 0x3fda9628
	v_add_f64 v[32:33], v[44:45], v[32:33]
	v_mul_f64 v[44:45], v[100:101], s[14:15]
	v_add_f64 v[32:33], v[40:41], v[32:33]
	v_mul_f64 v[40:41], v[100:101], s[6:7]
	v_add_f64 v[44:45], v[44:45], v[104:105]
	v_add_f64 v[104:105], v[120:121], v[108:109]
	v_mul_f64 v[108:109], v[42:43], s[6:7]
	v_mul_f64 v[120:121], v[22:23], s[6:7]
	v_add_f64 v[32:33], v[56:57], v[32:33]
	v_mul_f64 v[56:57], v[88:89], s[8:9]
	v_add_f64 v[40:41], v[40:41], v[102:103]
	v_add_f64 v[102:103], v[118:119], v[106:107]
	v_fma_f64 v[106:107], v[100:101], s[20:21], v[112:113]
	v_add_f64 v[44:45], v[16:17], v[44:45]
	v_mul_f64 v[118:119], v[42:43], s[8:9]
	v_add_f64 v[104:105], v[16:17], v[104:105]
	v_add_f64 v[80:81], v[108:109], v[80:81]
	;; [unrolled: 1-line block ×3, first 2 shown]
	v_fma_f64 v[52:53], v[100:101], s[20:21], -v[112:113]
	s_mov_b32 s20, 0x43842ef
	s_mov_b32 s21, 0xbfefac9e
	v_mul_f64 v[100:101], v[42:43], s[16:17]
	v_add_f64 v[56:57], v[56:57], v[92:93]
	v_add_f64 v[92:93], v[122:123], v[94:95]
	;; [unrolled: 1-line block ×3, first 2 shown]
	v_mul_f64 v[112:113], v[42:43], s[18:19]
	v_mul_f64 v[90:91], v[90:91], s[20:21]
	v_add_f64 v[94:95], v[124:125], v[96:97]
	v_add_f64 v[96:97], v[126:127], v[98:99]
	;; [unrolled: 1-line block ×3, first 2 shown]
	v_fma_f64 v[98:99], v[88:89], s[22:23], v[110:111]
	v_add_f64 v[106:107], v[16:17], v[106:107]
	v_fma_f64 v[88:89], v[88:89], s[22:23], -v[110:111]
	s_mov_b32 s20, 0x640f44db
	v_mul_f64 v[110:111], v[22:23], s[16:17]
	s_mov_b32 s16, 0xbb3a28a1
	s_mov_b32 s21, 0xbfc2375f
	;; [unrolled: 1-line block ×3, first 2 shown]
	v_add_f64 v[84:85], v[118:119], v[84:85]
	v_add_f64 v[32:33], v[48:49], v[32:33]
	v_add_f64 v[16:17], v[16:17], v[52:53]
	v_mul_f64 v[48:49], v[22:23], s[14:15]
	v_mul_f64 v[52:53], v[22:23], s[18:19]
	v_add_f64 v[78:79], v[100:101], v[78:79]
	v_mul_f64 v[86:87], v[86:87], s[16:17]
	v_add_f64 v[44:45], v[92:93], v[44:45]
	v_add_f64 v[40:41], v[56:57], v[40:41]
	;; [unrolled: 1-line block ×3, first 2 shown]
	v_fma_f64 v[100:101], v[42:43], s[20:21], v[90:91]
	v_fma_f64 v[42:43], v[42:43], s[20:21], -v[90:91]
	v_add_f64 v[90:91], v[96:97], v[104:105]
	v_add_f64 v[56:57], v[94:95], v[102:103]
	v_mul_f64 v[94:95], v[18:19], s[6:7]
	v_add_f64 v[92:93], v[98:99], v[106:107]
	s_mov_b32 s6, 0xfd768dbf
	s_mov_b32 s7, 0xbfd207e7
	v_mul_f64 v[96:97], v[18:19], s[14:15]
	v_mul_f64 v[76:77], v[76:77], s[6:7]
	s_mov_b32 s6, 0x9bcd5057
	s_mov_b32 s7, 0xbfeeb42a
	v_add_f64 v[32:33], v[36:37], v[32:33]
	v_add_f64 v[16:17], v[88:89], v[16:17]
	v_mul_f64 v[36:37], v[18:19], s[18:19]
	v_mul_f64 v[88:89], v[18:19], s[8:9]
	v_add_f64 v[46:47], v[48:49], v[46:47]
	v_add_f64 v[48:49], v[52:53], v[50:51]
	;; [unrolled: 1-line block ×6, first 2 shown]
	v_fma_f64 v[54:55], v[22:23], s[8:9], v[86:87]
	v_add_f64 v[74:75], v[84:85], v[90:91]
	v_add_f64 v[56:57], v[82:83], v[56:57]
	v_fma_f64 v[22:23], v[22:23], s[8:9], -v[86:87]
	v_add_f64 v[78:79], v[100:101], v[92:93]
	v_add_f64 v[30:31], v[94:95], v[30:31]
	v_add_f64 v[26:27], v[96:97], v[26:27]
	v_add_f64 v[28:29], v[28:29], v[32:33]
	v_add_f64 v[16:17], v[42:43], v[16:17]
	v_add_f64 v[32:33], v[36:37], v[38:39]
	v_add_f64 v[34:35], v[88:89], v[34:35]
	v_fma_f64 v[36:37], v[18:19], s[6:7], v[76:77]
	v_fma_f64 v[18:19], v[18:19], s[6:7], -v[76:77]
	v_add_f64 v[38:39], v[46:47], v[40:41]
	v_add_f64 v[40:41], v[48:49], v[44:45]
	;; [unrolled: 1-line block ×14, first 2 shown]
	v_mad_u32_u24 v18, 0x50, v116, v114
	ds_write2_b64 v18, v[12:13], v[14:15] offset0:6 offset1:7
	ds_write2_b64 v18, v[8:9], v[10:11] offset0:8 offset1:9
	;; [unrolled: 1-line block ×4, first 2 shown]
	ds_write2_b64 v18, v[20:21], v[32:33] offset1:1
	ds_write_b64 v18, v[16:17] offset:80
.LBB0_15:
	s_or_b32 exec_lo, exec_lo, s1
	v_and_b32_e32 v16, 0xff, v116
	s_load_dwordx2 s[4:5], s[4:5], 0x0
	s_waitcnt lgkmcnt(0)
	s_barrier
	buffer_gl0_inv
	v_mul_lo_u16 v16, 0x75, v16
	s_mov_b32 s6, 0xe8584caa
	s_mov_b32 s7, 0x3febb67a
	;; [unrolled: 1-line block ×4, first 2 shown]
	v_lshrrev_b16 v16, 8, v16
	v_cmp_gt_u32_e64 s0, 0x42, v116
	v_sub_nc_u16 v17, v116, v16
	v_lshrrev_b16 v17, 1, v17
	v_and_b32_e32 v17, 0x7f, v17
	v_add_nc_u16 v16, v17, v16
	v_mov_b32_e32 v17, 5
	v_lshrrev_b16 v74, 3, v16
	v_mul_lo_u16 v16, v74, 11
	v_sub_nc_u16 v75, v116, v16
	v_mul_u32_u24_sdwa v16, v75, v17 dst_sel:DWORD dst_unused:UNUSED_PAD src0_sel:BYTE_0 src1_sel:DWORD
	v_lshlrev_b32_e32 v28, 4, v16
	s_clause 0x4
	global_load_dwordx4 v[16:19], v28, s[12:13] offset:32
	global_load_dwordx4 v[20:23], v28, s[12:13] offset:64
	global_load_dwordx4 v[24:27], v28, s[12:13]
	global_load_dwordx4 v[36:39], v28, s[12:13] offset:16
	global_load_dwordx4 v[40:43], v28, s[12:13] offset:48
	ds_read2_b64 v[46:49], v115 offset0:92 offset1:202
	ds_read2_b64 v[50:53], v117 offset0:56 offset1:166
	ds_read2_b64 v[28:31], v114 offset1:110
	s_waitcnt vmcnt(0) lgkmcnt(0)
	s_barrier
	buffer_gl0_inv
	v_mul_f64 v[32:33], v[48:49], v[18:19]
	v_mul_f64 v[18:19], v[64:65], v[18:19]
	;; [unrolled: 1-line block ×6, first 2 shown]
	v_fma_f64 v[56:57], v[64:65], v[16:17], -v[32:33]
	v_fma_f64 v[34:35], v[48:49], v[16:17], v[18:19]
	v_fma_f64 v[32:33], v[52:53], v[20:21], v[44:45]
	v_fma_f64 v[16:17], v[68:69], v[20:21], -v[22:23]
	v_mul_f64 v[18:19], v[46:47], v[38:39]
	v_mul_f64 v[20:21], v[50:51], v[42:43]
	v_fma_f64 v[22:23], v[60:61], v[24:25], -v[54:55]
	v_fma_f64 v[30:31], v[30:31], v[24:25], v[26:27]
	v_mul_f64 v[48:49], v[62:63], v[38:39]
	v_mul_f64 v[42:43], v[66:67], v[42:43]
	v_add_f64 v[24:25], v[34:35], v[32:33]
	v_add_f64 v[26:27], v[56:57], v[16:17]
	v_fma_f64 v[38:39], v[62:63], v[36:37], -v[18:19]
	v_fma_f64 v[44:45], v[66:67], v[40:41], -v[20:21]
	v_add_f64 v[18:19], v[34:35], -v[32:33]
	v_add_f64 v[20:21], v[56:57], -v[16:17]
	v_fma_f64 v[46:47], v[46:47], v[36:37], v[48:49]
	v_fma_f64 v[36:37], v[50:51], v[40:41], v[42:43]
	v_fma_f64 v[24:25], v[24:25], -0.5, v[30:31]
	v_fma_f64 v[26:27], v[26:27], -0.5, v[22:23]
	v_add_f64 v[52:53], v[58:59], v[38:39]
	v_add_f64 v[48:49], v[38:39], v[44:45]
	;; [unrolled: 1-line block ×3, first 2 shown]
	v_add_f64 v[54:55], v[46:47], -v[36:37]
	v_fma_f64 v[42:43], v[20:21], s[8:9], v[24:25]
	v_fma_f64 v[40:41], v[18:19], s[8:9], v[26:27]
	;; [unrolled: 1-line block ×3, first 2 shown]
	v_fma_f64 v[56:57], v[48:49], -0.5, v[58:59]
	v_fma_f64 v[48:49], v[20:21], s[6:7], v[24:25]
	v_add_f64 v[24:25], v[52:53], v[44:45]
	v_add_f64 v[22:23], v[22:23], v[16:17]
	v_mul_f64 v[18:19], v[42:43], s[6:7]
	v_mul_f64 v[20:21], v[40:41], -0.5
	v_fma_f64 v[26:27], v[54:55], s[6:7], v[56:57]
	v_fma_f64 v[52:53], v[54:55], s[8:9], v[56:57]
	v_add_f64 v[16:17], v[24:25], v[22:23]
	v_add_f64 v[22:23], v[24:25], -v[22:23]
	v_fma_f64 v[54:55], v[50:51], 0.5, v[18:19]
	v_fma_f64 v[56:57], v[48:49], s[6:7], v[20:21]
	v_add_f64 v[18:19], v[26:27], v[54:55]
	v_add_f64 v[20:21], v[52:53], v[56:57]
	v_add_f64 v[24:25], v[26:27], -v[54:55]
	v_add_f64 v[26:27], v[52:53], -v[56:57]
	v_mov_b32_e32 v52, 0x210
	v_mov_b32_e32 v53, 3
	v_mul_u32_u24_sdwa v52, v74, v52 dst_sel:DWORD dst_unused:UNUSED_PAD src0_sel:WORD_0 src1_sel:DWORD
	v_lshlrev_b32_sdwa v53, v53, v75 dst_sel:DWORD dst_unused:UNUSED_PAD src0_sel:DWORD src1_sel:BYTE_0
	v_add3_u32 v52, 0, v52, v53
	ds_write2_b64 v52, v[16:17], v[18:19] offset1:11
	ds_write2_b64 v52, v[20:21], v[22:23] offset0:22 offset1:33
	ds_write2_b64 v52, v[24:25], v[26:27] offset0:44 offset1:55
	s_waitcnt lgkmcnt(0)
	s_barrier
	buffer_gl0_inv
	s_and_saveexec_b32 s1, s0
	s_cbranch_execz .LBB0_17
; %bb.16:
	v_add_nc_u32_e32 v0, 0x800, v114
	v_add_nc_u32_e32 v1, 0x1000, v114
	ds_read2_b64 v[16:19], v114 offset1:66
	ds_read2_b64 v[20:23], v114 offset0:132 offset1:198
	ds_read2_b64 v[24:27], v0 offset0:8 offset1:74
	;; [unrolled: 1-line block ×4, first 2 shown]
.LBB0_17:
	s_or_b32 exec_lo, exec_lo, s1
	v_add_f64 v[53:54], v[46:47], v[36:37]
	v_add_f64 v[46:47], v[28:29], v[46:47]
	v_add_f64 v[38:39], v[38:39], -v[44:45]
	v_add_f64 v[30:31], v[30:31], v[34:35]
	v_mul_f64 v[34:35], v[50:51], s[8:9]
	v_mul_f64 v[44:45], v[48:49], -0.5
	s_waitcnt lgkmcnt(0)
	s_barrier
	buffer_gl0_inv
	v_fma_f64 v[28:29], v[53:54], -0.5, v[28:29]
	v_add_f64 v[36:37], v[46:47], v[36:37]
	v_add_f64 v[30:31], v[30:31], v[32:33]
	v_fma_f64 v[42:43], v[42:43], 0.5, v[34:35]
	v_fma_f64 v[40:41], v[40:41], s[8:9], v[44:45]
	v_fma_f64 v[44:45], v[38:39], s[8:9], v[28:29]
	;; [unrolled: 1-line block ×3, first 2 shown]
	v_add_f64 v[28:29], v[36:37], v[30:31]
	v_add_f64 v[34:35], v[36:37], -v[30:31]
	v_add_f64 v[30:31], v[44:45], v[42:43]
	v_add_f64 v[32:33], v[38:39], v[40:41]
	v_add_f64 v[36:37], v[44:45], -v[42:43]
	v_add_f64 v[38:39], v[38:39], -v[40:41]
	ds_write2_b64 v52, v[28:29], v[30:31] offset1:11
	ds_write2_b64 v52, v[32:33], v[34:35] offset0:22 offset1:33
	ds_write2_b64 v52, v[36:37], v[38:39] offset0:44 offset1:55
	s_waitcnt lgkmcnt(0)
	s_barrier
	buffer_gl0_inv
	s_and_saveexec_b32 s1, s0
	s_cbranch_execnz .LBB0_20
; %bb.18:
	s_or_b32 exec_lo, exec_lo, s1
	s_and_b32 s0, vcc_lo, s0
	s_and_saveexec_b32 s1, s0
	s_cbranch_execnz .LBB0_21
.LBB0_19:
	s_endpgm
.LBB0_20:
	v_add_nc_u32_e32 v8, 0x800, v114
	v_add_nc_u32_e32 v9, 0x1000, v114
	ds_read2_b64 v[28:31], v114 offset1:66
	ds_read2_b64 v[32:35], v114 offset0:132 offset1:198
	ds_read2_b64 v[36:39], v8 offset0:8 offset1:74
	;; [unrolled: 1-line block ×4, first 2 shown]
	s_or_b32 exec_lo, exec_lo, s1
	s_and_b32 s0, vcc_lo, s0
	s_and_saveexec_b32 s1, s0
	s_cbranch_execz .LBB0_19
.LBB0_21:
	v_mul_u32_u24_e32 v40, 9, v116
	v_add_nc_u32_e32 v102, 0x42, v116
	v_add_nc_u32_e32 v103, 0x84, v116
	v_mul_lo_u32 v98, s5, v72
	v_mul_lo_u32 v99, s4, v73
	v_lshlrev_b32_e32 v68, 4, v40
	v_add_nc_u32_e32 v104, 0xc6, v116
	v_mad_u64_u32 v[82:83], null, s2, v102, 0
	v_mad_u64_u32 v[84:85], null, s2, v103, 0
	s_clause 0x8
	global_load_dwordx4 v[40:43], v68, s[12:13] offset:912
	global_load_dwordx4 v[44:47], v68, s[12:13] offset:944
	;; [unrolled: 1-line block ×9, first 2 shown]
	v_mad_u64_u32 v[68:69], null, s4, v72, 0
	v_mad_u64_u32 v[72:73], null, s2, v116, 0
	;; [unrolled: 1-line block ×3, first 2 shown]
	v_add_nc_u32_e32 v105, 0x108, v116
	v_lshlrev_b64 v[70:71], 4, v[70:71]
	v_add3_u32 v69, v69, v99, v98
	v_add_nc_u32_e32 v106, 0x14a, v116
	v_add_nc_u32_e32 v107, 0x18c, v116
	v_mad_u64_u32 v[88:89], null, s2, v105, 0
	v_lshlrev_b64 v[68:69], 4, v[68:69]
	v_add_nc_u32_e32 v108, 0x1ce, v116
	v_add_nc_u32_e32 v109, 0x210, v116
	;; [unrolled: 1-line block ×3, first 2 shown]
	v_mad_u64_u32 v[90:91], null, s2, v106, 0
	v_add_co_u32 v68, vcc_lo, s10, v68
	v_add_co_ci_u32_e32 v69, vcc_lo, s11, v69, vcc_lo
	v_mad_u64_u32 v[92:93], null, s2, v107, 0
	v_add_co_u32 v130, vcc_lo, v68, v70
	v_mad_u64_u32 v[94:95], null, s2, v108, 0
	v_mad_u64_u32 v[96:97], null, s2, v109, 0
	v_add_co_ci_u32_e32 v131, vcc_lo, v69, v71, vcc_lo
	v_mad_u64_u32 v[98:99], null, s2, v110, 0
	s_mov_b32 s0, 0x134454ff
	s_mov_b32 s1, 0x3fee6f0e
	;; [unrolled: 1-line block ×12, first 2 shown]
	s_waitcnt vmcnt(1)
	v_mad_u64_u32 v[100:101], null, s3, v116, v[73:74]
	v_mov_b32_e32 v73, v83
	v_mov_b32_e32 v83, v85
	;; [unrolled: 1-line block ×5, first 2 shown]
	v_mad_u64_u32 v[101:102], null, s3, v102, v[73:74]
	v_mad_u64_u32 v[102:103], null, s3, v103, v[83:84]
	;; [unrolled: 1-line block ×3, first 2 shown]
	v_mov_b32_e32 v73, v100
	v_mad_u64_u32 v[104:105], null, s3, v105, v[87:88]
	v_mov_b32_e32 v83, v101
	v_mov_b32_e32 v85, v102
	v_lshlrev_b64 v[68:69], 4, v[72:73]
	v_mov_b32_e32 v87, v103
	s_waitcnt lgkmcnt(3)
	v_mul_f64 v[72:73], v[34:35], v[42:43]
	v_lshlrev_b64 v[70:71], 4, v[82:83]
	s_waitcnt lgkmcnt(2)
	v_mul_f64 v[82:83], v[38:39], v[46:47]
	s_waitcnt lgkmcnt(0)
	v_mul_f64 v[100:101], v[10:11], v[50:51]
	v_mul_f64 v[102:103], v[14:15], v[54:55]
	;; [unrolled: 1-line block ×6, first 2 shown]
	v_mov_b32_e32 v91, v93
	v_mov_b32_e32 v93, v95
	;; [unrolled: 1-line block ×4, first 2 shown]
	v_mad_u64_u32 v[105:106], null, s3, v106, v[89:90]
	v_mad_u64_u32 v[106:107], null, s3, v107, v[91:92]
	;; [unrolled: 1-line block ×5, first 2 shown]
	v_mov_b32_e32 v89, v104
	v_mov_b32_e32 v91, v105
	;; [unrolled: 1-line block ×5, first 2 shown]
	v_mul_f64 v[104:105], v[32:33], v[56:57]
	v_mov_b32_e32 v99, v109
	v_mul_f64 v[106:107], v[36:37], v[60:61]
	v_mul_f64 v[108:109], v[8:9], v[64:65]
	;; [unrolled: 1-line block ×7, first 2 shown]
	s_waitcnt vmcnt(0)
	v_mul_f64 v[112:113], v[30:31], v[80:81]
	v_mul_f64 v[80:81], v[18:19], v[80:81]
	v_fma_f64 v[22:23], v[22:23], v[40:41], -v[72:73]
	v_fma_f64 v[26:27], v[26:27], v[44:45], -v[82:83]
	v_fma_f64 v[2:3], v[2:3], v[48:49], -v[100:101]
	v_fma_f64 v[6:7], v[6:7], v[52:53], -v[102:103]
	v_fma_f64 v[38:39], v[38:39], v[44:45], v[46:47]
	v_fma_f64 v[14:15], v[14:15], v[52:53], v[54:55]
	;; [unrolled: 1-line block ×4, first 2 shown]
	v_lshlrev_b64 v[84:85], 4, v[84:85]
	v_add_co_u32 v48, vcc_lo, v130, v68
	v_fma_f64 v[50:51], v[20:21], v[58:59], v[104:105]
	v_add_co_ci_u32_e32 v49, vcc_lo, v131, v69, vcc_lo
	v_fma_f64 v[52:53], v[24:25], v[62:63], v[106:107]
	v_fma_f64 v[54:55], v[0:1], v[66:67], v[108:109]
	;; [unrolled: 1-line block ×3, first 2 shown]
	v_fma_f64 v[24:25], v[24:25], v[60:61], -v[36:37]
	v_fma_f64 v[4:5], v[4:5], v[74:75], -v[12:13]
	;; [unrolled: 1-line block ×5, first 2 shown]
	v_fma_f64 v[18:19], v[30:31], v[78:79], v[80:81]
	v_lshlrev_b64 v[86:87], 4, v[86:87]
	v_add_f64 v[32:33], v[22:23], v[2:3]
	v_add_f64 v[20:21], v[26:27], v[6:7]
	v_add_f64 v[76:77], v[26:27], -v[6:7]
	v_add_f64 v[30:31], v[38:39], v[14:15]
	v_add_f64 v[74:75], v[38:39], -v[14:15]
	;; [unrolled: 2-line block ×3, first 2 shown]
	v_add_f64 v[78:79], v[22:23], -v[2:3]
	v_add_co_u32 v56, vcc_lo, v130, v70
	v_add_co_ci_u32_e32 v57, vcc_lo, v131, v71, vcc_lo
	v_add_co_u32 v60, vcc_lo, v130, v84
	v_add_co_ci_u32_e32 v61, vcc_lo, v131, v85, vcc_lo
	v_add_co_u32 v62, vcc_lo, v130, v86
	v_lshlrev_b64 v[40:41], 4, v[92:93]
	v_lshlrev_b64 v[46:47], 4, v[98:99]
	v_add_co_ci_u32_e32 v63, vcc_lo, v131, v87, vcc_lo
	v_fma_f64 v[32:33], v[32:33], -0.5, v[8:9]
	v_fma_f64 v[20:21], v[20:21], -0.5, v[8:9]
	v_add_f64 v[80:81], v[52:53], v[58:59]
	v_fma_f64 v[30:31], v[30:31], -0.5, v[18:19]
	v_add_f64 v[82:83], v[22:23], -v[26:27]
	v_fma_f64 v[36:37], v[36:37], -0.5, v[18:19]
	v_add_f64 v[84:85], v[2:3], -v[6:7]
	v_add_f64 v[86:87], v[34:35], -v[38:39]
	;; [unrolled: 1-line block ×3, first 2 shown]
	v_add_f64 v[98:99], v[50:51], v[54:55]
	v_add_f64 v[100:101], v[26:27], -v[22:23]
	v_add_f64 v[102:103], v[6:7], -v[2:3]
	;; [unrolled: 1-line block ×4, first 2 shown]
	v_add_f64 v[18:19], v[34:35], v[18:19]
	v_add_f64 v[34:35], v[24:25], v[4:5]
	;; [unrolled: 1-line block ×3, first 2 shown]
	v_add_f64 v[70:71], v[12:13], -v[0:1]
	v_add_f64 v[108:109], v[28:29], v[50:51]
	v_add_f64 v[112:113], v[12:13], -v[24:25]
	v_add_f64 v[126:127], v[24:25], -v[12:13]
	v_add_f64 v[12:13], v[16:17], v[12:13]
	v_fma_f64 v[120:121], v[74:75], s[8:9], v[32:33]
	v_fma_f64 v[122:123], v[72:73], s[0:1], v[20:21]
	;; [unrolled: 1-line block ×8, first 2 shown]
	v_add_f64 v[8:9], v[22:23], v[8:9]
	v_lshlrev_b64 v[42:43], 4, v[94:95]
	v_add_f64 v[64:65], v[50:51], -v[52:53]
	v_add_f64 v[68:69], v[24:25], -v[4:5]
	;; [unrolled: 1-line block ×5, first 2 shown]
	v_fma_f64 v[22:23], v[80:81], -0.5, v[28:29]
	v_fma_f64 v[28:29], v[98:99], -0.5, v[28:29]
	v_add_f64 v[80:81], v[82:83], v[84:85]
	v_add_f64 v[82:83], v[86:87], v[92:93]
	v_fma_f64 v[34:35], v[34:35], -0.5, v[16:17]
	v_fma_f64 v[16:17], v[110:111], -0.5, v[16:17]
	v_add_f64 v[84:85], v[100:101], v[102:103]
	v_add_f64 v[86:87], v[104:105], v[106:107]
	v_fma_f64 v[100:101], v[72:73], s[6:7], v[120:121]
	v_fma_f64 v[102:103], v[74:75], s[6:7], v[122:123]
	;; [unrolled: 1-line block ×8, first 2 shown]
	v_add_f64 v[52:53], v[108:109], v[52:53]
	v_add_f64 v[18:19], v[38:39], v[18:19]
	;; [unrolled: 1-line block ×4, first 2 shown]
	v_lshlrev_b64 v[44:45], 4, v[96:97]
	v_add_f64 v[66:67], v[54:55], -v[58:59]
	v_add_f64 v[96:97], v[58:59], -v[54:55]
	;; [unrolled: 1-line block ×3, first 2 shown]
	v_fma_f64 v[24:25], v[70:71], s[0:1], v[22:23]
	v_fma_f64 v[26:27], v[68:69], s[8:9], v[28:29]
	;; [unrolled: 1-line block ×13, first 2 shown]
	v_add_f64 v[128:129], v[4:5], -v[0:1]
	v_fma_f64 v[20:21], v[80:81], s[4:5], v[20:21]
	v_fma_f64 v[36:37], v[86:87], s[4:5], v[36:37]
	;; [unrolled: 1-line block ×3, first 2 shown]
	v_add_f64 v[52:53], v[52:53], v[58:59]
	v_add_f64 v[14:15], v[14:15], v[18:19]
	;; [unrolled: 1-line block ×7, first 2 shown]
	v_fma_f64 v[8:9], v[68:69], s[6:7], v[24:25]
	v_fma_f64 v[12:13], v[70:71], s[6:7], v[26:27]
	;; [unrolled: 1-line block ×8, first 2 shown]
	v_mul_f64 v[38:39], v[76:77], s[4:5]
	v_mul_f64 v[50:51], v[78:79], s[8:9]
	;; [unrolled: 1-line block ×4, first 2 shown]
	v_add_f64 v[82:83], v[126:127], v[128:129]
	v_mul_f64 v[68:69], v[20:21], s[14:15]
	v_mul_f64 v[72:73], v[36:37], s[0:1]
	;; [unrolled: 1-line block ×4, first 2 shown]
	v_lshlrev_b64 v[88:89], 4, v[88:89]
	v_add_f64 v[52:53], v[54:55], v[52:53]
	v_add_f64 v[10:11], v[10:11], v[14:15]
	;; [unrolled: 1-line block ×4, first 2 shown]
	v_fma_f64 v[8:9], v[64:65], s[4:5], v[8:9]
	v_add_co_u32 v86, vcc_lo, v130, v88
	v_fma_f64 v[12:13], v[66:67], s[4:5], v[12:13]
	v_fma_f64 v[54:55], v[66:67], s[4:5], v[18:19]
	;; [unrolled: 1-line block ×4, first 2 shown]
	v_add_co_ci_u32_e32 v87, vcc_lo, v131, v89, vcc_lo
	v_fma_f64 v[24:25], v[32:33], s[8:9], -v[38:39]
	v_fma_f64 v[32:33], v[36:37], s[4:5], v[50:51]
	v_fma_f64 v[36:37], v[80:81], s[4:5], v[28:29]
	;; [unrolled: 1-line block ×5, first 2 shown]
	v_fma_f64 v[50:51], v[74:75], s[6:7], -v[68:69]
	v_fma_f64 v[68:69], v[78:79], s[4:5], v[72:73]
	v_fma_f64 v[88:89], v[82:83], s[4:5], v[26:27]
	v_fma_f64 v[70:71], v[76:77], s[0:1], -v[70:71]
	v_fma_f64 v[20:21], v[20:21], s[12:13], -v[34:35]
	v_add_f64 v[6:7], v[52:53], v[10:11]
	v_add_f64 v[0:1], v[4:5], -v[14:15]
	v_add_f64 v[4:5], v[4:5], v[14:15]
	v_lshlrev_b64 v[90:91], 4, v[90:91]
	v_add_f64 v[2:3], v[52:53], -v[10:11]
	v_add_co_u32 v72, vcc_lo, v130, v90
	v_add_f64 v[14:15], v[12:13], -v[24:25]
	v_add_f64 v[18:19], v[54:55], -v[32:33]
	v_add_f64 v[30:31], v[54:55], v[32:33]
	v_add_f64 v[34:35], v[64:65], v[38:39]
	v_add_f64 v[32:33], v[36:37], v[58:59]
	v_add_f64 v[26:27], v[12:13], v[24:25]
	v_add_f64 v[38:39], v[64:65], -v[38:39]
	v_add_f64 v[28:29], v[16:17], v[68:69]
	v_add_f64 v[36:37], v[36:37], -v[58:59]
	v_add_f64 v[24:25], v[88:89], v[70:71]
	v_add_f64 v[10:11], v[8:9], -v[20:21]
	v_add_f64 v[22:23], v[8:9], v[20:21]
	v_add_f64 v[20:21], v[66:67], v[50:51]
	v_add_f64 v[16:17], v[16:17], -v[68:69]
	v_add_f64 v[12:13], v[88:89], -v[70:71]
	;; [unrolled: 1-line block ×3, first 2 shown]
	v_add_co_ci_u32_e32 v73, vcc_lo, v131, v91, vcc_lo
	v_add_co_u32 v40, vcc_lo, v130, v40
	v_add_co_ci_u32_e32 v41, vcc_lo, v131, v41, vcc_lo
	v_add_co_u32 v42, vcc_lo, v130, v42
	;; [unrolled: 2-line block ×4, first 2 shown]
	v_add_co_ci_u32_e32 v47, vcc_lo, v131, v47, vcc_lo
	global_store_dwordx4 v[48:49], v[4:7], off
	global_store_dwordx4 v[56:57], v[32:35], off
	;; [unrolled: 1-line block ×10, first 2 shown]
	s_endpgm
	.section	.rodata,"a",@progbits
	.p2align	6, 0x0
	.amdhsa_kernel fft_rtc_fwd_len660_factors_11_6_10_wgs_110_tpt_110_halfLds_dp_op_CI_CI_sbrr_dirReg
		.amdhsa_group_segment_fixed_size 0
		.amdhsa_private_segment_fixed_size 0
		.amdhsa_kernarg_size 104
		.amdhsa_user_sgpr_count 6
		.amdhsa_user_sgpr_private_segment_buffer 1
		.amdhsa_user_sgpr_dispatch_ptr 0
		.amdhsa_user_sgpr_queue_ptr 0
		.amdhsa_user_sgpr_kernarg_segment_ptr 1
		.amdhsa_user_sgpr_dispatch_id 0
		.amdhsa_user_sgpr_flat_scratch_init 0
		.amdhsa_user_sgpr_private_segment_size 0
		.amdhsa_wavefront_size32 1
		.amdhsa_uses_dynamic_stack 0
		.amdhsa_system_sgpr_private_segment_wavefront_offset 0
		.amdhsa_system_sgpr_workgroup_id_x 1
		.amdhsa_system_sgpr_workgroup_id_y 0
		.amdhsa_system_sgpr_workgroup_id_z 0
		.amdhsa_system_sgpr_workgroup_info 0
		.amdhsa_system_vgpr_workitem_id 0
		.amdhsa_next_free_vgpr 135
		.amdhsa_next_free_sgpr 40
		.amdhsa_reserve_vcc 1
		.amdhsa_reserve_flat_scratch 0
		.amdhsa_float_round_mode_32 0
		.amdhsa_float_round_mode_16_64 0
		.amdhsa_float_denorm_mode_32 3
		.amdhsa_float_denorm_mode_16_64 3
		.amdhsa_dx10_clamp 1
		.amdhsa_ieee_mode 1
		.amdhsa_fp16_overflow 0
		.amdhsa_workgroup_processor_mode 1
		.amdhsa_memory_ordered 1
		.amdhsa_forward_progress 0
		.amdhsa_shared_vgpr_count 0
		.amdhsa_exception_fp_ieee_invalid_op 0
		.amdhsa_exception_fp_denorm_src 0
		.amdhsa_exception_fp_ieee_div_zero 0
		.amdhsa_exception_fp_ieee_overflow 0
		.amdhsa_exception_fp_ieee_underflow 0
		.amdhsa_exception_fp_ieee_inexact 0
		.amdhsa_exception_int_div_zero 0
	.end_amdhsa_kernel
	.text
.Lfunc_end0:
	.size	fft_rtc_fwd_len660_factors_11_6_10_wgs_110_tpt_110_halfLds_dp_op_CI_CI_sbrr_dirReg, .Lfunc_end0-fft_rtc_fwd_len660_factors_11_6_10_wgs_110_tpt_110_halfLds_dp_op_CI_CI_sbrr_dirReg
                                        ; -- End function
	.section	.AMDGPU.csdata,"",@progbits
; Kernel info:
; codeLenInByte = 8644
; NumSgprs: 42
; NumVgprs: 135
; ScratchSize: 0
; MemoryBound: 1
; FloatMode: 240
; IeeeMode: 1
; LDSByteSize: 0 bytes/workgroup (compile time only)
; SGPRBlocks: 5
; VGPRBlocks: 16
; NumSGPRsForWavesPerEU: 42
; NumVGPRsForWavesPerEU: 135
; Occupancy: 7
; WaveLimiterHint : 1
; COMPUTE_PGM_RSRC2:SCRATCH_EN: 0
; COMPUTE_PGM_RSRC2:USER_SGPR: 6
; COMPUTE_PGM_RSRC2:TRAP_HANDLER: 0
; COMPUTE_PGM_RSRC2:TGID_X_EN: 1
; COMPUTE_PGM_RSRC2:TGID_Y_EN: 0
; COMPUTE_PGM_RSRC2:TGID_Z_EN: 0
; COMPUTE_PGM_RSRC2:TIDIG_COMP_CNT: 0
	.text
	.p2alignl 6, 3214868480
	.fill 48, 4, 3214868480
	.type	__hip_cuid_a1122b70ec94d53,@object ; @__hip_cuid_a1122b70ec94d53
	.section	.bss,"aw",@nobits
	.globl	__hip_cuid_a1122b70ec94d53
__hip_cuid_a1122b70ec94d53:
	.byte	0                               ; 0x0
	.size	__hip_cuid_a1122b70ec94d53, 1

	.ident	"AMD clang version 19.0.0git (https://github.com/RadeonOpenCompute/llvm-project roc-6.4.0 25133 c7fe45cf4b819c5991fe208aaa96edf142730f1d)"
	.section	".note.GNU-stack","",@progbits
	.addrsig
	.addrsig_sym __hip_cuid_a1122b70ec94d53
	.amdgpu_metadata
---
amdhsa.kernels:
  - .args:
      - .actual_access:  read_only
        .address_space:  global
        .offset:         0
        .size:           8
        .value_kind:     global_buffer
      - .offset:         8
        .size:           8
        .value_kind:     by_value
      - .actual_access:  read_only
        .address_space:  global
        .offset:         16
        .size:           8
        .value_kind:     global_buffer
      - .actual_access:  read_only
        .address_space:  global
        .offset:         24
        .size:           8
        .value_kind:     global_buffer
      - .actual_access:  read_only
        .address_space:  global
        .offset:         32
        .size:           8
        .value_kind:     global_buffer
      - .offset:         40
        .size:           8
        .value_kind:     by_value
      - .actual_access:  read_only
        .address_space:  global
        .offset:         48
        .size:           8
        .value_kind:     global_buffer
      - .actual_access:  read_only
        .address_space:  global
        .offset:         56
        .size:           8
        .value_kind:     global_buffer
      - .offset:         64
        .size:           4
        .value_kind:     by_value
      - .actual_access:  read_only
        .address_space:  global
        .offset:         72
        .size:           8
        .value_kind:     global_buffer
      - .actual_access:  read_only
        .address_space:  global
        .offset:         80
        .size:           8
        .value_kind:     global_buffer
      - .actual_access:  read_only
        .address_space:  global
        .offset:         88
        .size:           8
        .value_kind:     global_buffer
      - .actual_access:  write_only
        .address_space:  global
        .offset:         96
        .size:           8
        .value_kind:     global_buffer
    .group_segment_fixed_size: 0
    .kernarg_segment_align: 8
    .kernarg_segment_size: 104
    .language:       OpenCL C
    .language_version:
      - 2
      - 0
    .max_flat_workgroup_size: 110
    .name:           fft_rtc_fwd_len660_factors_11_6_10_wgs_110_tpt_110_halfLds_dp_op_CI_CI_sbrr_dirReg
    .private_segment_fixed_size: 0
    .sgpr_count:     42
    .sgpr_spill_count: 0
    .symbol:         fft_rtc_fwd_len660_factors_11_6_10_wgs_110_tpt_110_halfLds_dp_op_CI_CI_sbrr_dirReg.kd
    .uniform_work_group_size: 1
    .uses_dynamic_stack: false
    .vgpr_count:     135
    .vgpr_spill_count: 0
    .wavefront_size: 32
    .workgroup_processor_mode: 1
amdhsa.target:   amdgcn-amd-amdhsa--gfx1030
amdhsa.version:
  - 1
  - 2
...

	.end_amdgpu_metadata
